;; amdgpu-corpus repo=ROCm/rocFFT kind=compiled arch=gfx1030 opt=O3
	.text
	.amdgcn_target "amdgcn-amd-amdhsa--gfx1030"
	.amdhsa_code_object_version 6
	.protected	fft_rtc_back_len60_factors_6_10_wgs_160_tpt_10_half_ip_CI_sbcc_twdbase6_3step ; -- Begin function fft_rtc_back_len60_factors_6_10_wgs_160_tpt_10_half_ip_CI_sbcc_twdbase6_3step
	.globl	fft_rtc_back_len60_factors_6_10_wgs_160_tpt_10_half_ip_CI_sbcc_twdbase6_3step
	.p2align	8
	.type	fft_rtc_back_len60_factors_6_10_wgs_160_tpt_10_half_ip_CI_sbcc_twdbase6_3step,@function
fft_rtc_back_len60_factors_6_10_wgs_160_tpt_10_half_ip_CI_sbcc_twdbase6_3step: ; @fft_rtc_back_len60_factors_6_10_wgs_160_tpt_10_half_ip_CI_sbcc_twdbase6_3step
; %bb.0:
	s_clause 0x2
	s_load_dwordx2 s[16:17], s[4:5], 0x58
	s_load_dwordx2 s[18:19], s[4:5], 0x0
	s_load_dwordx8 s[8:15], s[4:5], 0x8
	s_mov_b32 s1, exec_lo
	v_cmpx_gt_u32_e32 0xc0, v0
	s_cbranch_execz .LBB0_3
; %bb.1:
	v_lshlrev_b32_e32 v5, 2, v0
	v_add_co_u32 v1, s0, 0xffffff60, v0
	v_add_co_ci_u32_e64 v2, null, 0, -1, s0
	s_waitcnt lgkmcnt(0)
	v_add_co_u32 v3, s0, s8, v5
	v_add_co_ci_u32_e64 v4, null, s9, 0, s0
	v_add3_u32 v5, v5, 0, 0xf00
	s_mov_b32 s2, 0
	.p2align	6
.LBB0_2:                                ; =>This Inner Loop Header: Depth=1
	global_load_dword v6, v[3:4], off
	v_add_co_u32 v1, vcc_lo, 0xa0, v1
	v_add_co_ci_u32_e32 v2, vcc_lo, 0, v2, vcc_lo
	v_add_co_u32 v3, vcc_lo, 0x280, v3
	v_add_co_ci_u32_e32 v4, vcc_lo, 0, v4, vcc_lo
	v_cmp_lt_u64_e64 s0, 31, v[1:2]
	s_or_b32 s2, s0, s2
	s_waitcnt vmcnt(0)
	ds_write_b32 v5, v6
	v_add_nc_u32_e32 v5, 0x280, v5
	s_andn2_b32 exec_lo, exec_lo, s2
	s_cbranch_execnz .LBB0_2
.LBB0_3:
	s_or_b32 exec_lo, exec_lo, s1
	s_waitcnt lgkmcnt(0)
	s_load_dwordx2 s[8:9], s[12:13], 0x8
	s_mov_b32 s7, 0
	s_mov_b64 s[22:23], 0
	s_waitcnt lgkmcnt(0)
	s_add_u32 s0, s8, -1
	s_addc_u32 s1, s9, -1
	s_lshr_b64 s[0:1], s[0:1], 4
	s_add_u32 s20, s0, 1
	s_addc_u32 s21, s1, 0
	v_cmp_lt_u64_e64 s0, s[6:7], s[20:21]
	s_and_b32 vcc_lo, exec_lo, s0
	s_cbranch_vccnz .LBB0_5
; %bb.4:
	v_cvt_f32_u32_e32 v1, s20
	s_sub_i32 s1, 0, s20
	s_mov_b32 s23, s7
	v_rcp_iflag_f32_e32 v1, v1
	v_mul_f32_e32 v1, 0x4f7ffffe, v1
	v_cvt_u32_f32_e32 v1, v1
	v_readfirstlane_b32 s0, v1
	s_mul_i32 s1, s1, s0
	s_mul_hi_u32 s1, s0, s1
	s_add_i32 s0, s0, s1
	s_mul_hi_u32 s0, s6, s0
	s_mul_i32 s1, s0, s20
	s_add_i32 s2, s0, 1
	s_sub_i32 s1, s6, s1
	s_sub_i32 s3, s1, s20
	s_cmp_ge_u32 s1, s20
	s_cselect_b32 s0, s2, s0
	s_cselect_b32 s1, s3, s1
	s_add_i32 s2, s0, 1
	s_cmp_ge_u32 s1, s20
	s_cselect_b32 s22, s2, s0
.LBB0_5:
	s_load_dwordx4 s[0:3], s[14:15], 0x0
	s_mul_i32 s4, s22, s21
	s_mul_hi_u32 s5, s22, s20
	s_mul_i32 s24, s22, s20
	s_add_i32 s5, s5, s4
	s_sub_u32 s4, s6, s24
	s_subb_u32 s5, 0, s5
	v_cmp_lt_u64_e64 s25, s[10:11], 3
	v_alignbit_b32 v1, s5, s4, 28
	s_lshl_b64 s[4:5], s[4:5], 4
	s_and_b32 vcc_lo, exec_lo, s25
	s_waitcnt lgkmcnt(0)
	v_mul_lo_u32 v1, s2, v1
	s_mul_hi_u32 s24, s2, s4
	s_mul_i32 s26, s3, s4
	v_add_nc_u32_e32 v2, s24, v1
	s_mul_i32 s24, s2, s4
	v_mov_b32_e32 v1, s24
	v_add_nc_u32_e32 v2, s26, v2
	s_cbranch_vccnz .LBB0_14
; %bb.6:
	s_add_u32 s24, s14, 16
	s_addc_u32 s25, s15, 0
	s_add_u32 s12, s12, 16
	s_addc_u32 s13, s13, 0
	s_mov_b64 s[26:27], 2
	s_mov_b32 s28, 0
	s_branch .LBB0_8
.LBB0_7:                                ;   in Loop: Header=BB0_8 Depth=1
	s_load_dwordx2 s[36:37], s[24:25], 0x0
	s_mul_i32 s21, s30, s21
	s_mul_hi_u32 s29, s30, s20
	s_mul_i32 s33, s31, s20
	s_mul_i32 s31, s34, s31
	s_mul_hi_u32 s38, s34, s30
	s_mul_i32 s39, s35, s30
	s_add_i32 s21, s29, s21
	s_add_i32 s29, s38, s31
	s_mul_i32 s40, s34, s30
	s_add_i32 s21, s21, s33
	s_add_i32 s29, s29, s39
	s_sub_u32 s22, s22, s40
	s_subb_u32 s23, s23, s29
	s_mul_i32 s20, s30, s20
	s_waitcnt lgkmcnt(0)
	s_mul_i32 s23, s36, s23
	s_mul_hi_u32 s29, s36, s22
	s_mul_i32 s31, s37, s22
	s_add_i32 s23, s29, s23
	s_mul_i32 s22, s36, s22
	s_add_i32 s23, s23, s31
	s_add_u32 s26, s26, 1
	s_addc_u32 s27, s27, 0
	v_add_co_u32 v1, vcc_lo, s22, v1
	v_cmp_ge_u64_e64 s29, s[26:27], s[10:11]
	v_add_co_ci_u32_e32 v2, vcc_lo, s23, v2, vcc_lo
	s_add_u32 s24, s24, 8
	s_addc_u32 s25, s25, 0
	s_add_u32 s12, s12, 8
	s_addc_u32 s13, s13, 0
	s_and_b32 vcc_lo, exec_lo, s29
	s_mov_b64 s[22:23], s[34:35]
	s_cbranch_vccnz .LBB0_12
.LBB0_8:                                ; =>This Inner Loop Header: Depth=1
	s_load_dwordx2 s[30:31], s[12:13], 0x0
	s_waitcnt lgkmcnt(0)
	s_or_b64 s[34:35], s[22:23], s[30:31]
	s_mov_b32 s29, s35
                                        ; implicit-def: $sgpr34_sgpr35
	s_cmp_lg_u64 s[28:29], 0
	s_mov_b32 s29, -1
	s_cbranch_scc0 .LBB0_10
; %bb.9:                                ;   in Loop: Header=BB0_8 Depth=1
	v_cvt_f32_u32_e32 v3, s30
	v_cvt_f32_u32_e32 v4, s31
	s_sub_u32 s34, 0, s30
	s_subb_u32 s35, 0, s31
	v_fmac_f32_e32 v3, 0x4f800000, v4
	v_rcp_f32_e32 v3, v3
	v_mul_f32_e32 v3, 0x5f7ffffc, v3
	v_mul_f32_e32 v4, 0x2f800000, v3
	v_trunc_f32_e32 v4, v4
	v_fmac_f32_e32 v3, 0xcf800000, v4
	v_cvt_u32_f32_e32 v4, v4
	v_cvt_u32_f32_e32 v3, v3
	v_readfirstlane_b32 s29, v4
	v_readfirstlane_b32 s33, v3
	s_mul_i32 s36, s34, s29
	s_mul_hi_u32 s38, s34, s33
	s_mul_i32 s37, s35, s33
	s_add_i32 s36, s38, s36
	s_mul_i32 s39, s34, s33
	s_add_i32 s36, s36, s37
	s_mul_hi_u32 s38, s33, s39
	s_mul_hi_u32 s40, s29, s39
	s_mul_i32 s37, s29, s39
	s_mul_hi_u32 s39, s33, s36
	s_mul_i32 s33, s33, s36
	s_mul_hi_u32 s41, s29, s36
	s_add_u32 s33, s38, s33
	s_addc_u32 s38, 0, s39
	s_add_u32 s33, s33, s37
	s_mul_i32 s36, s29, s36
	s_addc_u32 s33, s38, s40
	s_addc_u32 s37, s41, 0
	s_add_u32 s33, s33, s36
	s_addc_u32 s36, 0, s37
	v_add_co_u32 v3, s33, v3, s33
	s_cmp_lg_u32 s33, 0
	s_addc_u32 s29, s29, s36
	v_readfirstlane_b32 s33, v3
	s_mul_i32 s36, s34, s29
	s_mul_hi_u32 s37, s34, s33
	s_mul_i32 s35, s35, s33
	s_add_i32 s36, s37, s36
	s_mul_i32 s34, s34, s33
	s_add_i32 s36, s36, s35
	s_mul_hi_u32 s37, s29, s34
	s_mul_i32 s38, s29, s34
	s_mul_hi_u32 s34, s33, s34
	s_mul_hi_u32 s39, s33, s36
	s_mul_i32 s33, s33, s36
	s_mul_hi_u32 s35, s29, s36
	s_add_u32 s33, s34, s33
	s_addc_u32 s34, 0, s39
	s_add_u32 s33, s33, s38
	s_mul_i32 s36, s29, s36
	s_addc_u32 s33, s34, s37
	s_addc_u32 s34, s35, 0
	s_add_u32 s33, s33, s36
	s_addc_u32 s34, 0, s34
	v_add_co_u32 v3, s33, v3, s33
	s_cmp_lg_u32 s33, 0
	s_addc_u32 s29, s29, s34
	v_readfirstlane_b32 s33, v3
	s_mul_i32 s35, s22, s29
	s_mul_hi_u32 s34, s22, s29
	s_mul_hi_u32 s36, s23, s29
	s_mul_i32 s29, s23, s29
	s_mul_hi_u32 s37, s22, s33
	s_mul_hi_u32 s38, s23, s33
	s_mul_i32 s33, s23, s33
	s_add_u32 s35, s37, s35
	s_addc_u32 s34, 0, s34
	s_add_u32 s33, s35, s33
	s_addc_u32 s33, s34, s38
	s_addc_u32 s34, s36, 0
	s_add_u32 s33, s33, s29
	s_addc_u32 s34, 0, s34
	s_mul_hi_u32 s29, s30, s33
	s_mul_i32 s36, s30, s34
	s_mul_i32 s37, s30, s33
	s_add_i32 s29, s29, s36
	v_sub_co_u32 v3, s36, s22, s37
	s_mul_i32 s35, s31, s33
	s_add_i32 s29, s29, s35
	v_sub_co_u32 v4, s37, v3, s30
	s_sub_i32 s35, s23, s29
	s_cmp_lg_u32 s36, 0
	s_subb_u32 s35, s35, s31
	s_cmp_lg_u32 s37, 0
	v_readfirstlane_b32 s37, v4
	s_subb_u32 s35, s35, 0
	s_cmp_ge_u32 s35, s31
	s_cselect_b32 s38, -1, 0
	s_cmp_ge_u32 s37, s30
	s_cselect_b32 s37, -1, 0
	s_cmp_eq_u32 s35, s31
	s_cselect_b32 s35, s37, s38
	s_add_u32 s37, s33, 1
	s_addc_u32 s38, s34, 0
	s_add_u32 s39, s33, 2
	s_addc_u32 s40, s34, 0
	s_cmp_lg_u32 s35, 0
	s_cselect_b32 s37, s39, s37
	s_cselect_b32 s35, s40, s38
	s_cmp_lg_u32 s36, 0
	v_readfirstlane_b32 s36, v3
	s_subb_u32 s29, s23, s29
	s_cmp_ge_u32 s29, s31
	s_cselect_b32 s38, -1, 0
	s_cmp_ge_u32 s36, s30
	s_cselect_b32 s36, -1, 0
	s_cmp_eq_u32 s29, s31
	s_cselect_b32 s29, s36, s38
	s_cmp_lg_u32 s29, 0
	s_mov_b32 s29, 0
	s_cselect_b32 s35, s35, s34
	s_cselect_b32 s34, s37, s33
.LBB0_10:                               ;   in Loop: Header=BB0_8 Depth=1
	s_andn2_b32 vcc_lo, exec_lo, s29
	s_cbranch_vccnz .LBB0_7
; %bb.11:                               ;   in Loop: Header=BB0_8 Depth=1
	v_cvt_f32_u32_e32 v3, s30
	s_sub_i32 s33, 0, s30
	v_rcp_iflag_f32_e32 v3, v3
	v_mul_f32_e32 v3, 0x4f7ffffe, v3
	v_cvt_u32_f32_e32 v3, v3
	v_readfirstlane_b32 s29, v3
	s_mul_i32 s33, s33, s29
	s_mul_hi_u32 s33, s29, s33
	s_add_i32 s29, s29, s33
	s_mul_hi_u32 s29, s22, s29
	s_mul_i32 s33, s29, s30
	s_add_i32 s34, s29, 1
	s_sub_i32 s33, s22, s33
	s_sub_i32 s35, s33, s30
	s_cmp_ge_u32 s33, s30
	s_cselect_b32 s29, s34, s29
	s_cselect_b32 s33, s35, s33
	s_add_i32 s34, s29, 1
	s_cmp_ge_u32 s33, s30
	s_mov_b32 s35, s28
	s_cselect_b32 s34, s34, s29
	s_branch .LBB0_7
.LBB0_12:
	v_cmp_lt_u64_e64 s7, s[6:7], s[20:21]
	s_mov_b64 s[22:23], 0
	s_and_b32 vcc_lo, exec_lo, s7
	s_cbranch_vccnz .LBB0_14
; %bb.13:
	v_cvt_f32_u32_e32 v3, s20
	s_sub_i32 s12, 0, s20
	v_rcp_iflag_f32_e32 v3, v3
	v_mul_f32_e32 v3, 0x4f7ffffe, v3
	v_cvt_u32_f32_e32 v3, v3
	v_readfirstlane_b32 s7, v3
	s_mul_i32 s12, s12, s7
	s_mul_hi_u32 s12, s7, s12
	s_add_i32 s7, s7, s12
	s_mul_hi_u32 s7, s6, s7
	s_mul_i32 s12, s7, s20
	s_sub_i32 s6, s6, s12
	s_add_i32 s12, s7, 1
	s_sub_i32 s13, s6, s20
	s_cmp_ge_u32 s6, s20
	s_cselect_b32 s7, s12, s7
	s_cselect_b32 s6, s13, s6
	s_add_i32 s12, s7, 1
	s_cmp_ge_u32 s6, s20
	s_cselect_b32 s22, s12, s7
.LBB0_14:
	s_lshl_b64 s[6:7], s[10:11], 3
	v_and_b32_e32 v17, 15, v0
	s_add_u32 s6, s14, s6
	s_addc_u32 s7, s15, s7
	v_mov_b32_e32 v4, s5
	s_load_dwordx2 s[6:7], s[6:7], 0x0
	v_or_b32_e32 v3, s4, v17
	v_lshrrev_b32_e32 v16, 4, v0
	v_mul_u32_u24_e32 v18, 0xf0, v17
	v_lshlrev_b32_e32 v19, 2, v16
	v_add_nc_u32_e32 v15, 10, v16
	v_add_nc_u32_e32 v14, 20, v16
	;; [unrolled: 1-line block ×5, first 2 shown]
	s_waitcnt lgkmcnt(0)
	s_mul_i32 s7, s7, s22
	s_mul_hi_u32 s10, s6, s22
	s_mul_i32 s6, s6, s22
	s_add_i32 s10, s10, s7
	v_add_co_u32 v1, vcc_lo, s6, v1
	v_add_co_ci_u32_e32 v2, vcc_lo, s10, v2, vcc_lo
	s_add_u32 s6, s4, 16
	s_addc_u32 s7, s5, 0
	v_cmp_gt_u64_e32 vcc_lo, s[8:9], v[3:4]
	v_cmp_le_u64_e64 s5, s[6:7], s[8:9]
	v_lshlrev_b64 v[1:2], 2, v[1:2]
	s_or_b32 s5, s5, vcc_lo
	s_and_saveexec_b32 s6, s5
	s_cbranch_execz .LBB0_16
; %bb.15:
	v_mad_u64_u32 v[3:4], null, s2, v17, 0
	v_mad_u64_u32 v[5:6], null, s0, v16, 0
	;; [unrolled: 1-line block ×5, first 2 shown]
	v_mov_b32_e32 v4, v8
	v_mad_u64_u32 v[22:23], null, s1, v16, v[6:7]
	v_mad_u64_u32 v[23:24], null, s1, v15, v[4:5]
	v_mov_b32_e32 v4, v9
	v_mad_u64_u32 v[9:10], null, s0, v13, 0
	v_add_co_u32 v24, vcc_lo, s16, v1
	v_lshlrev_b64 v[3:4], 2, v[3:4]
	v_mov_b32_e32 v6, v22
	v_add_co_ci_u32_e32 v25, vcc_lo, s17, v2, vcc_lo
	v_mad_u64_u32 v[21:22], null, s1, v14, v[21:22]
	v_add_co_u32 v29, vcc_lo, v24, v3
	v_mov_b32_e32 v3, v10
	v_mov_b32_e32 v8, v23
	v_lshlrev_b64 v[5:6], 2, v[5:6]
	v_mad_u64_u32 v[22:23], null, s0, v12, 0
	v_add_co_ci_u32_e32 v30, vcc_lo, v25, v4, vcc_lo
	v_mad_u64_u32 v[3:4], null, s1, v13, v[3:4]
	v_mad_u64_u32 v[24:25], null, s0, v11, 0
	v_add_co_u32 v4, vcc_lo, v29, v5
	v_lshlrev_b64 v[7:8], 2, v[7:8]
	v_add_co_ci_u32_e32 v5, vcc_lo, v30, v6, vcc_lo
	v_mov_b32_e32 v6, v23
	v_mov_b32_e32 v10, v3
	;; [unrolled: 1-line block ×3, first 2 shown]
	v_lshlrev_b64 v[20:21], 2, v[20:21]
	v_mad_u64_u32 v[26:27], null, s1, v12, v[6:7]
	v_mad_u64_u32 v[27:28], null, s1, v11, v[3:4]
	v_add_co_u32 v6, vcc_lo, v29, v7
	v_add_co_ci_u32_e32 v7, vcc_lo, v30, v8, vcc_lo
	v_mov_b32_e32 v23, v26
	v_lshlrev_b64 v[8:9], 2, v[9:10]
	v_mov_b32_e32 v25, v27
	v_add_co_u32 v20, vcc_lo, v29, v20
	v_lshlrev_b64 v[22:23], 2, v[22:23]
	v_add_co_ci_u32_e32 v21, vcc_lo, v30, v21, vcc_lo
	v_add_co_u32 v8, vcc_lo, v29, v8
	v_lshlrev_b64 v[24:25], 2, v[24:25]
	v_add_co_ci_u32_e32 v9, vcc_lo, v30, v9, vcc_lo
	v_add_co_u32 v22, vcc_lo, v29, v22
	v_add_co_ci_u32_e32 v23, vcc_lo, v30, v23, vcc_lo
	v_add_co_u32 v24, vcc_lo, v29, v24
	v_add_co_ci_u32_e32 v25, vcc_lo, v30, v25, vcc_lo
	s_clause 0x5
	global_load_dword v3, v[4:5], off
	global_load_dword v4, v[6:7], off
	;; [unrolled: 1-line block ×6, first 2 shown]
	v_add3_u32 v9, 0, v18, v19
	s_waitcnt vmcnt(4)
	ds_write2_b32 v9, v3, v4 offset1:10
	s_waitcnt vmcnt(2)
	ds_write2_b32 v9, v5, v6 offset0:20 offset1:30
	s_waitcnt vmcnt(0)
	ds_write2_b32 v9, v7, v8 offset0:40 offset1:50
.LBB0_16:
	s_or_b32 exec_lo, exec_lo, s6
	v_mul_hi_u32 v32, 0x1999999a, v0
	s_waitcnt lgkmcnt(0)
	s_barrier
	buffer_gl0_inv
                                        ; implicit-def: $vgpr29
                                        ; implicit-def: $vgpr31
	v_and_b32_e32 v3, 15, v32
	v_mul_u32_u24_e32 v4, 10, v32
	v_mul_u32_u24_e32 v3, 60, v3
	v_sub_nc_u32_e32 v33, v0, v4
	v_lshlrev_b32_e32 v3, 2, v3
	v_lshlrev_b32_e32 v4, 2, v33
	v_cmp_gt_u32_e32 vcc_lo, 6, v33
	v_add3_u32 v0, 0, v4, v3
	v_add3_u32 v20, 0, v3, v4
	ds_read2_b32 v[3:4], v0 offset0:10 offset1:20
	ds_read2_b32 v[5:6], v0 offset0:30 offset1:40
	ds_read_b32 v7, v20
	ds_read_b32 v8, v0 offset:200
	s_waitcnt lgkmcnt(0)
	s_barrier
	buffer_gl0_inv
	v_pk_add_f16 v21, v3, v5
	v_pk_add_f16 v9, v7, v4
	;; [unrolled: 1-line block ×4, first 2 shown]
	v_pk_add_f16 v5, v5, v8 neg_lo:[0,1] neg_hi:[0,1]
	v_pk_add_f16 v4, v4, v6 neg_lo:[0,1] neg_hi:[0,1]
	v_pk_add_f16 v9, v9, v6
	v_pk_fma_f16 v3, v10, 0.5, v3 op_sel_hi:[1,0,1] neg_lo:[1,0,0] neg_hi:[1,0,0]
	v_pk_fma_f16 v6, v22, 0.5, v7 op_sel_hi:[1,0,1] neg_lo:[1,0,0] neg_hi:[1,0,0]
	v_pk_add_f16 v8, v21, v8
	v_mad_i32_i24 v10, v33, 20, v0
	v_pk_fma_f16 v7, 0x3aee, v5, v3 op_sel:[0,0,1] op_sel_hi:[0,1,0] neg_lo:[0,1,0] neg_hi:[0,1,0]
	v_pk_fma_f16 v3, 0x3aee, v5, v3 op_sel:[0,0,1] op_sel_hi:[0,1,0]
	v_pk_fma_f16 v23, 0x3aee, v4, v6 op_sel:[0,0,1] op_sel_hi:[0,1,0] neg_lo:[0,1,0] neg_hi:[0,1,0]
	v_pk_fma_f16 v4, 0x3aee, v4, v6 op_sel:[0,0,1] op_sel_hi:[0,1,0]
	v_pk_add_f16 v21, v9, v8
	v_pk_mul_f16 v5, 0x3aee, v7 op_sel_hi:[0,1]
	v_lshrrev_b32_e32 v6, 16, v7
	v_mul_f16_e32 v22, 0x3aee, v3
	v_lshrrev_b32_e32 v24, 16, v3
	v_mul_f16_e32 v7, -0.5, v7
	v_pk_fma_f16 v26, 0xb8003800, v3, v5 op_sel:[0,0,1] op_sel_hi:[1,1,0]
	v_pk_fma_f16 v3, 0xb8003800, v3, v5 op_sel:[0,0,1] op_sel_hi:[1,1,0] neg_lo:[0,0,1] neg_hi:[0,0,1]
	v_fma_f16 v6, v6, 0.5, -v22
	v_pk_add_f16 v5, v9, v8 neg_lo:[0,1] neg_hi:[0,1]
	v_fmac_f16_e32 v7, 0x3aee, v24
	v_alignbit_b32 v8, v4, v23, 16
	v_bfi_b32 v9, 0xffff, v26, v3
	v_alignbit_b32 v24, v23, v4, 16
	v_pack_b32_f16 v26, v6, v26
	v_alignbit_b32 v27, v7, v3, 16
	v_add_f16_e32 v28, v23, v7
	v_pk_add_f16 v22, v4, v9
	v_add_f16_sdwa v3, v23, v6 dst_sel:DWORD dst_unused:UNUSED_PAD src0_sel:WORD_1 src1_sel:DWORD
	v_pk_add_f16 v6, v8, v26 neg_lo:[0,1] neg_hi:[0,1]
	v_pk_add_f16 v7, v24, v27 neg_lo:[0,1] neg_hi:[0,1]
	v_lshrrev_b32_e32 v25, 16, v5
	v_lshrrev_b32_e32 v4, 16, v22
	v_alignbit_b32 v8, v28, v22, 16
	v_pack_b32_f16 v9, v3, v22
	v_lshrrev_b32_e32 v30, 16, v6
	v_lshrrev_b32_e32 v23, 16, v7
	ds_write2_b32 v10, v5, v6 offset0:3 offset1:4
	ds_write2_b32 v10, v21, v7 offset1:5
                                        ; implicit-def: $vgpr26
                                        ; implicit-def: $vgpr27
                                        ; implicit-def: $vgpr24
	ds_write2_b32 v10, v9, v8 offset0:1 offset1:2
	s_waitcnt lgkmcnt(0)
	s_barrier
	buffer_gl0_inv
                                        ; implicit-def: $vgpr10
	s_and_saveexec_b32 s6, vcc_lo
	s_cbranch_execz .LBB0_18
; %bb.17:
	ds_read2_b32 v[9:10], v0 offset0:42 offset1:48
	ds_read_b32 v27, v0 offset:216
	ds_read2_b32 v[3:4], v0 offset0:6 offset1:12
	ds_read2_b32 v[5:6], v0 offset0:18 offset1:24
	;; [unrolled: 1-line block ×3, first 2 shown]
	ds_read_b32 v21, v20
	s_waitcnt lgkmcnt(5)
	v_lshrrev_b32_e32 v29, 16, v10
	s_waitcnt lgkmcnt(4)
	v_lshrrev_b32_e32 v26, 16, v27
	;; [unrolled: 2-line block ×3, first 2 shown]
	v_lshrrev_b32_e32 v28, 16, v4
	s_waitcnt lgkmcnt(2)
	v_lshrrev_b32_e32 v25, 16, v5
	v_lshrrev_b32_e32 v30, 16, v6
	s_waitcnt lgkmcnt(1)
	v_lshrrev_b32_e32 v23, 16, v7
	v_lshrrev_b32_e32 v31, 16, v8
	;; [unrolled: 1-line block ×3, first 2 shown]
.LBB0_18:
	s_or_b32 exec_lo, exec_lo, s6
	v_add_nc_u32_e32 v34, -6, v33
	v_add_nc_u32_e32 v48, s4, v32
	s_add_i32 s4, 0, 0xf00
	v_cndmask_b32_e32 v62, v34, v33, vcc_lo
	v_mul_lo_u32 v49, v48, 6
	v_mul_lo_u32 v32, v48, v62
	v_or_b32_e32 v33, 24, v62
	v_mul_lo_u32 v40, v48, v33
	v_and_b32_e32 v34, 63, v32
	v_lshrrev_b32_e32 v35, 4, v32
	v_lshrrev_b32_e32 v36, 10, v32
	v_add_nc_u32_e32 v32, v32, v49
	v_lshl_add_u32 v33, v34, 2, 0
	v_and_b32_e32 v34, 0xfc, v35
	v_and_b32_e32 v35, 0xfc, v36
	;; [unrolled: 1-line block ×3, first 2 shown]
	v_lshrrev_b32_e32 v37, 4, v32
	v_lshrrev_b32_e32 v38, 10, v32
	v_add_nc_u32_e32 v32, v32, v49
	v_add_nc_u32_e32 v34, s4, v34
	v_lshl_add_u32 v39, v36, 2, 0
	v_and_b32_e32 v36, 0xfc, v37
	v_and_b32_e32 v37, 0xfc, v38
	v_lshrrev_b32_e32 v41, 4, v32
	v_add_nc_u32_e32 v43, v32, v49
	v_and_b32_e32 v38, 63, v32
	v_lshrrev_b32_e32 v42, 10, v32
	v_add_nc_u32_e32 v35, s4, v35
	;; [unrolled: 3-line block ×3, first 2 shown]
	v_lshl_add_u32 v41, v38, 2, 0
	v_and_b32_e32 v46, 0xfc, v42
	v_add_nc_u32_e32 v42, s4, v32
	v_add_nc_u32_e32 v45, s4, v37
	ds_read_b32 v36, v33 offset:3840
	ds_read_b32 v37, v34 offset:256
	;; [unrolled: 1-line block ×8, first 2 shown]
	v_and_b32_e32 v34, 0xfc, v50
	v_mul_lo_u32 v50, v48, 12
	v_and_b32_e32 v47, 63, v43
	v_lshrrev_b32_e32 v35, 10, v43
	v_add_nc_u32_e32 v44, s4, v46
	v_add_nc_u32_e32 v46, s4, v34
	v_lshl_add_u32 v45, v47, 2, 0
	v_and_b32_e32 v34, 0xfc, v35
	v_add_nc_u32_e32 v43, v43, v50
	v_lshrrev_b32_e32 v47, 4, v40
	v_and_b32_e32 v35, 63, v40
	v_lshrrev_b32_e32 v40, 10, v40
	v_add_nc_u32_e32 v51, s4, v34
	v_lshrrev_b32_e32 v53, 10, v43
	v_and_b32_e32 v34, 0xfc, v47
	v_lshrrev_b32_e32 v47, 4, v43
	v_add_nc_u32_e32 v58, v43, v49
	v_lshl_add_u32 v52, v35, 2, 0
	v_and_b32_e32 v35, 0xfc, v40
	v_and_b32_e32 v40, 63, v43
	;; [unrolled: 1-line block ×4, first 2 shown]
	v_add_nc_u32_e32 v49, v58, v49
	v_add_nc_u32_e32 v54, s4, v34
	v_lshl_add_u32 v56, v40, 2, 0
	v_add_nc_u32_e32 v55, s4, v35
	ds_read_b32 v34, v44 offset:512
	ds_read_b32 v43, v45 offset:3840
	;; [unrolled: 1-line block ×8, first 2 shown]
	v_or_b32_e32 v56, 48, v62
	v_lshrrev_b32_e32 v54, 4, v58
	v_add_nc_u32_e32 v55, s4, v53
	v_lshrrev_b32_e32 v53, 10, v58
	v_and_b32_e32 v51, 63, v58
	v_add_nc_u32_e32 v52, s4, v57
	v_lshrrev_b32_e32 v57, 4, v49
	v_lshrrev_b32_e32 v58, 10, v49
	v_mul_lo_u32 v60, v48, v56
	v_and_b32_e32 v54, 0xfc, v54
	v_and_b32_e32 v53, 0xfc, v53
	;; [unrolled: 1-line block ×5, first 2 shown]
	v_lshl_add_u32 v51, v51, 2, 0
	v_add_nc_u32_e32 v57, s4, v54
	v_add_nc_u32_e32 v65, v49, v50
	v_add_nc_u32_e32 v58, s4, v53
	v_lshl_add_u32 v59, v59, 2, 0
	v_add_nc_u32_e32 v61, s4, v48
	v_add_nc_u32_e32 v63, s4, v56
	ds_read_b32 v53, v52 offset:256
	ds_read_b32 v48, v55 offset:512
	;; [unrolled: 1-line block ×8, first 2 shown]
	v_lshrrev_b32_e32 v51, 4, v60
	v_lshrrev_b32_e32 v52, 10, v60
	;; [unrolled: 1-line block ×3, first 2 shown]
	v_and_b32_e32 v64, 63, v60
	v_lshrrev_b32_e32 v60, 10, v65
	v_and_b32_e32 v51, 0xfc, v51
	v_and_b32_e32 v52, 0xfc, v52
	;; [unrolled: 1-line block ×4, first 2 shown]
	v_lshl_add_u32 v58, v64, 2, 0
	v_and_b32_e32 v60, 0xfc, v60
	v_add_nc_u32_e32 v51, s4, v51
	v_add_nc_u32_e32 v52, s4, v52
	v_lshl_add_u32 v61, v61, 2, 0
	v_add_nc_u32_e32 v63, s4, v59
	v_add_nc_u32_e32 v64, s4, v60
	ds_read_b32 v58, v58 offset:3840
	ds_read_b32 v59, v51 offset:256
	;; [unrolled: 1-line block ×6, first 2 shown]
	s_waitcnt lgkmcnt(0)
	s_barrier
	buffer_gl0_inv
	s_and_saveexec_b32 s4, vcc_lo
	s_cbranch_execz .LBB0_20
; %bb.19:
	v_mul_i32_i24_e32 v62, 9, v62
	v_mov_b32_e32 v63, 0
	v_mul_f16_sdwa v72, v60, v61 dst_sel:DWORD dst_unused:UNUSED_PAD src0_sel:DWORD src1_sel:WORD_1
	v_lshrrev_b32_e32 v74, 16, v58
	v_lshrrev_b32_e32 v76, 16, v56
	v_mul_f16_sdwa v77, v58, v59 dst_sel:DWORD dst_unused:UNUSED_PAD src0_sel:DWORD src1_sel:WORD_1
	v_lshlrev_b64 v[62:63], 2, v[62:63]
	v_lshrrev_b32_e32 v73, 16, v36
	v_lshrrev_b32_e32 v75, 16, v41
	;; [unrolled: 1-line block ×3, first 2 shown]
	v_mul_f16_sdwa v79, v56, v57 dst_sel:DWORD dst_unused:UNUSED_PAD src0_sel:DWORD src1_sel:WORD_1
	v_lshrrev_b32_e32 v80, 16, v47
	v_add_co_u32 v70, vcc_lo, s18, v62
	v_add_co_ci_u32_e32 v71, vcc_lo, s19, v63, vcc_lo
	v_mul_f16_sdwa v81, v54, v55 dst_sel:DWORD dst_unused:UNUSED_PAD src0_sel:DWORD src1_sel:WORD_1
	v_lshrrev_b32_e32 v82, 16, v45
	s_clause 0x2
	global_load_dwordx4 v[62:65], v[70:71], off
	global_load_dwordx4 v[66:69], v[70:71], off offset:16
	global_load_dword v70, v[70:71], off offset:32
	v_lshrrev_b32_e32 v71, 16, v60
	v_mul_f16_sdwa v83, v47, v53 dst_sel:DWORD dst_unused:UNUSED_PAD src0_sel:DWORD src1_sel:WORD_1
	v_lshrrev_b32_e32 v85, 16, v43
	v_mul_f16_sdwa v86, v45, v46 dst_sel:DWORD dst_unused:UNUSED_PAD src0_sel:DWORD src1_sel:WORD_1
	v_fmac_f16_e32 v77, v74, v59
	v_mul_f16_sdwa v84, v71, v61 dst_sel:DWORD dst_unused:UNUSED_PAD src0_sel:DWORD src1_sel:WORD_1
	v_fmac_f16_e32 v72, v71, v61
	v_mul_f16_sdwa v71, v74, v59 dst_sel:DWORD dst_unused:UNUSED_PAD src0_sel:DWORD src1_sel:WORD_1
	v_mul_f16_sdwa v74, v76, v57 dst_sel:DWORD dst_unused:UNUSED_PAD src0_sel:DWORD src1_sel:WORD_1
	v_fmac_f16_e32 v79, v76, v57
	v_fma_f16 v60, v60, v61, -v84
	v_mul_f16_sdwa v61, v43, v44 dst_sel:DWORD dst_unused:UNUSED_PAD src0_sel:DWORD src1_sel:WORD_1
	v_lshrrev_b32_e32 v84, 16, v38
	v_fma_f16 v58, v58, v59, -v71
	v_mul_f16_sdwa v59, v41, v42 dst_sel:DWORD dst_unused:UNUSED_PAD src0_sel:DWORD src1_sel:WORD_1
	v_mul_f16_sdwa v71, v38, v39 dst_sel:DWORD dst_unused:UNUSED_PAD src0_sel:DWORD src1_sel:WORD_1
	;; [unrolled: 1-line block ×3, first 2 shown]
	v_fma_f16 v56, v56, v57, -v74
	v_mul_f16_sdwa v74, v78, v55 dst_sel:DWORD dst_unused:UNUSED_PAD src0_sel:DWORD src1_sel:WORD_1
	v_fmac_f16_e32 v81, v78, v55
	v_mul_f16_sdwa v78, v80, v53 dst_sel:DWORD dst_unused:UNUSED_PAD src0_sel:DWORD src1_sel:WORD_1
	v_fmac_f16_e32 v83, v80, v53
	;; [unrolled: 2-line block ×7, first 2 shown]
	v_mul_f16_sdwa v73, v72, v52 dst_sel:DWORD dst_unused:UNUSED_PAD src0_sel:DWORD src1_sel:WORD_1
	v_fma_f16 v54, v54, v55, -v74
	v_fma_f16 v47, v47, v53, -v78
	;; [unrolled: 1-line block ×7, first 2 shown]
	v_mul_f16_sdwa v37, v77, v51 dst_sel:DWORD dst_unused:UNUSED_PAD src0_sel:DWORD src1_sel:WORD_1
	v_mul_f16_sdwa v39, v79, v50 dst_sel:DWORD dst_unused:UNUSED_PAD src0_sel:DWORD src1_sel:WORD_1
	;; [unrolled: 1-line block ×10, first 2 shown]
	v_fma_f16 v60, v52, v60, -v73
	v_fma_f16 v37, v51, v58, -v37
	v_mul_f16_sdwa v58, v58, v51 dst_sel:DWORD dst_unused:UNUSED_PAD src0_sel:DWORD src1_sel:WORD_1
	v_mul_f16_sdwa v73, v56, v50 dst_sel:DWORD dst_unused:UNUSED_PAD src0_sel:DWORD src1_sel:WORD_1
	v_fma_f16 v39, v50, v56, -v39
	v_mul_f16_sdwa v56, v54, v49 dst_sel:DWORD dst_unused:UNUSED_PAD src0_sel:DWORD src1_sel:WORD_1
	v_fma_f16 v42, v49, v54, -v42
	;; [unrolled: 2-line block ×4, first 2 shown]
	v_fma_f16 v46, v35, v43, -v53
	v_mul_f16_sdwa v43, v43, v35 dst_sel:DWORD dst_unused:UNUSED_PAD src0_sel:DWORD src1_sel:WORD_1
	v_fma_f16 v53, v34, v41, -v55
	v_mul_f16_sdwa v41, v41, v34 dst_sel:DWORD dst_unused:UNUSED_PAD src0_sel:DWORD src1_sel:WORD_1
	v_fma_f16 v55, v33, v38, -v74
	v_mul_f16_sdwa v74, v36, v32 dst_sel:DWORD dst_unused:UNUSED_PAD src0_sel:DWORD src1_sel:WORD_1
	v_mul_f16_sdwa v38, v38, v33 dst_sel:DWORD dst_unused:UNUSED_PAD src0_sel:DWORD src1_sel:WORD_1
	v_fma_f16 v36, v32, v36, -v75
	v_fmac_f16_e32 v78, v52, v72
	v_fmac_f16_e32 v58, v51, v77
	;; [unrolled: 1-line block ×7, first 2 shown]
	v_lshrrev_b32_e32 v57, 16, v21
	v_fmac_f16_e32 v73, v50, v79
	v_fmac_f16_e32 v47, v40, v86
	;; [unrolled: 1-line block ×3, first 2 shown]
	s_waitcnt vmcnt(2)
	v_mul_f16_sdwa v32, v4, v63 dst_sel:DWORD dst_unused:UNUSED_PAD src0_sel:DWORD src1_sel:WORD_1
	v_mul_f16_sdwa v48, v25, v64 dst_sel:DWORD dst_unused:UNUSED_PAD src0_sel:DWORD src1_sel:WORD_1
	v_mul_f16_sdwa v49, v28, v63 dst_sel:DWORD dst_unused:UNUSED_PAD src0_sel:DWORD src1_sel:WORD_1
	v_mul_f16_sdwa v52, v5, v64 dst_sel:DWORD dst_unused:UNUSED_PAD src0_sel:DWORD src1_sel:WORD_1
	s_waitcnt vmcnt(1)
	v_mul_f16_sdwa v59, v29, v69 dst_sel:DWORD dst_unused:UNUSED_PAD src0_sel:DWORD src1_sel:WORD_1
	v_mul_f16_sdwa v61, v7, v66 dst_sel:DWORD dst_unused:UNUSED_PAD src0_sel:DWORD src1_sel:WORD_1
	v_mul_f16_sdwa v72, v24, v68 dst_sel:DWORD dst_unused:UNUSED_PAD src0_sel:DWORD src1_sel:WORD_1
	v_mul_f16_sdwa v75, v22, v62 dst_sel:DWORD dst_unused:UNUSED_PAD src0_sel:DWORD src1_sel:WORD_1
	s_waitcnt vmcnt(0)
	v_mul_f16_sdwa v76, v27, v70 dst_sel:DWORD dst_unused:UNUSED_PAD src0_sel:DWORD src1_sel:WORD_1
	v_mul_f16_sdwa v77, v9, v68 dst_sel:DWORD dst_unused:UNUSED_PAD src0_sel:DWORD src1_sel:WORD_1
	v_mul_f16_sdwa v33, v6, v65 dst_sel:DWORD dst_unused:UNUSED_PAD src0_sel:DWORD src1_sel:WORD_1
	v_mul_f16_sdwa v34, v10, v69 dst_sel:DWORD dst_unused:UNUSED_PAD src0_sel:DWORD src1_sel:WORD_1
	v_mul_f16_sdwa v35, v8, v67 dst_sel:DWORD dst_unused:UNUSED_PAD src0_sel:DWORD src1_sel:WORD_1
	v_mul_f16_sdwa v40, v30, v65 dst_sel:DWORD dst_unused:UNUSED_PAD src0_sel:DWORD src1_sel:WORD_1
	;; [unrolled: 1-line block ×6, first 2 shown]
	v_fmac_f16_e32 v48, v5, v64
	v_fma_f16 v5, v28, v63, -v32
	v_fmac_f16_e32 v49, v4, v63
	v_fmac_f16_e32 v59, v10, v69
	v_fmac_f16_e32 v72, v9, v68
	v_fmac_f16_e32 v75, v3, v62
	v_fma_f16 v3, v25, v64, -v52
	v_fma_f16 v4, v26, v70, -v76
	;; [unrolled: 1-line block ×4, first 2 shown]
	v_fmac_f16_e32 v40, v6, v65
	v_fmac_f16_e32 v50, v8, v67
	;; [unrolled: 1-line block ×3, first 2 shown]
	v_fma_f16 v6, v30, v65, -v33
	v_fma_f16 v7, v29, v69, -v34
	;; [unrolled: 1-line block ×3, first 2 shown]
	v_fmac_f16_e32 v71, v27, v70
	v_fma_f16 v22, v22, v62, -v79
	v_add_f16_e32 v35, v9, v10
	v_add_f16_e32 v69, v3, v4
	;; [unrolled: 1-line block ×3, first 2 shown]
	v_sub_f16_e32 v23, v5, v6
	v_sub_f16_e32 v24, v7, v8
	v_add_f16_e32 v25, v6, v8
	v_sub_f16_e32 v26, v49, v59
	v_sub_f16_e32 v28, v48, v51
	;; [unrolled: 1-line block ×3, first 2 shown]
	v_add_f16_e32 v30, v51, v72
	v_sub_f16_e32 v31, v3, v4
	v_sub_f16_e32 v33, v3, v9
	;; [unrolled: 1-line block ×4, first 2 shown]
	v_add_f16_e32 v62, v40, v50
	v_sub_f16_e32 v63, v6, v5
	v_sub_f16_e32 v64, v8, v7
	;; [unrolled: 1-line block ×6, first 2 shown]
	v_add_f16_e32 v3, v22, v3
	v_add_f16_e32 v77, v49, v59
	;; [unrolled: 1-line block ×5, first 2 shown]
	v_sub_f16_e32 v48, v48, v71
	v_sub_f16_e32 v83, v51, v72
	;; [unrolled: 1-line block ×3, first 2 shown]
	v_fma_f16 v35, -0.5, v35, v22
	v_fma_f16 v22, -0.5, v69, v22
	v_add_f16_e32 v6, v81, v6
	v_sub_f16_e32 v27, v40, v50
	v_sub_f16_e32 v32, v9, v10
	;; [unrolled: 1-line block ×4, first 2 shown]
	v_add_f16_e32 v79, v5, v7
	v_add_f16_e32 v23, v23, v24
	;; [unrolled: 1-line block ×6, first 2 shown]
	v_fma_f16 v62, -0.5, v62, v21
	v_fma_f16 v21, -0.5, v77, v21
	;; [unrolled: 1-line block ×5, first 2 shown]
	v_add_f16_e32 v3, v3, v9
	v_add_f16_e32 v9, v49, v40
	v_add_f16_e32 v40, v82, v51
	v_add_f16_e32 v6, v6, v8
	v_fmamk_f16 v8, v48, 0xbb9c, v35
	v_fmamk_f16 v65, v83, 0x3b9c, v22
	v_fmac_f16_e32 v22, 0xbb9c, v83
	v_fmac_f16_e32 v35, 0x3b9c, v48
	v_sub_f16_e32 v5, v5, v7
	v_add_f16_e32 v29, v52, v61
	v_add_f16_e32 v52, v67, v68
	v_fma_f16 v57, -0.5, v79, v57
	v_fmamk_f16 v49, v26, 0xbb9c, v25
	v_fmamk_f16 v51, v31, 0x3b9c, v30
	v_add_f16_e32 v3, v3, v10
	v_add_f16_e32 v9, v9, v50
	;; [unrolled: 1-line block ×3, first 2 shown]
	v_fmamk_f16 v64, v32, 0xbb9c, v63
	v_fmac_f16_e32 v63, 0x3b9c, v32
	v_fmac_f16_e32 v25, 0x3b9c, v26
	;; [unrolled: 1-line block ×3, first 2 shown]
	v_fmamk_f16 v66, v84, 0xbb9c, v21
	v_fmac_f16_e32 v21, 0x3b9c, v84
	v_fmac_f16_e32 v8, 0xb8b4, v83
	;; [unrolled: 1-line block ×5, first 2 shown]
	v_sub_f16_e32 v76, v50, v59
	v_fmamk_f16 v10, v5, 0x3b9c, v62
	v_fmamk_f16 v50, v27, 0x3b9c, v57
	v_fmac_f16_e32 v57, 0xbb9c, v27
	v_fmac_f16_e32 v62, 0xbb9c, v5
	;; [unrolled: 1-line block ×10, first 2 shown]
	v_add_f16_e32 v5, v6, v7
	v_add_f16_e32 v3, v3, v4
	;; [unrolled: 1-line block ×4, first 2 shown]
	v_fmac_f16_e32 v8, 0x34f2, v28
	v_fmac_f16_e32 v65, 0x34f2, v52
	;; [unrolled: 1-line block ×4, first 2 shown]
	v_add_f16_e32 v61, v70, v76
	v_fmac_f16_e32 v50, 0xb8b4, v26
	v_fmac_f16_e32 v57, 0x38b4, v26
	;; [unrolled: 1-line block ×10, first 2 shown]
	v_sub_f16_e32 v7, v5, v3
	v_sub_f16_e32 v9, v4, v6
	v_add_f16_e32 v4, v4, v6
	v_mul_f16_e32 v6, 0xb8b4, v8
	v_mul_f16_e32 v23, 0xbb9c, v65
	;; [unrolled: 1-line block ×6, first 2 shown]
	v_add_f16_e32 v3, v5, v3
	v_mul_f16_e32 v5, 0xba79, v8
	v_mul_f16_e32 v8, 0xb4f2, v65
	v_fmac_f16_e32 v10, 0x34f2, v29
	v_fmac_f16_e32 v66, 0x34f2, v61
	;; [unrolled: 1-line block ×5, first 2 shown]
	v_mul_f16_e32 v29, v7, v54
	v_mul_f16_e32 v31, v4, v74
	v_fmac_f16_e32 v6, 0xba79, v51
	v_fmac_f16_e32 v23, 0xb4f2, v64
	v_fmac_f16_e32 v24, 0x3b9c, v63
	v_fmac_f16_e32 v22, 0x34f2, v63
	v_fmac_f16_e32 v26, 0x38b4, v30
	v_fmac_f16_e32 v27, 0x3a79, v30
	v_fmac_f16_e32 v50, 0x34f2, v33
	v_mul_f16_e32 v28, v9, v54
	v_mul_f16_e32 v32, v3, v74
	v_fmac_f16_e32 v5, 0x38b4, v51
	v_fmac_f16_e32 v8, 0x3b9c, v64
	;; [unrolled: 1-line block ×3, first 2 shown]
	v_fma_f16 v3, v3, v36, -v31
	v_sub_f16_e32 v9, v10, v6
	v_sub_f16_e32 v30, v66, v23
	;; [unrolled: 1-line block ×4, first 2 shown]
	v_add_f16_e32 v6, v10, v6
	v_add_f16_e32 v10, v66, v23
	;; [unrolled: 1-line block ×6, first 2 shown]
	v_fma_f16 v7, v7, v44, -v28
	v_fmac_f16_e32 v32, v4, v36
	v_sub_f16_e32 v4, v49, v5
	v_sub_f16_e32 v28, v50, v8
	v_add_f16_e32 v5, v49, v5
	v_add_f16_e32 v8, v50, v8
	v_sub_f16_e32 v34, v25, v26
	v_sub_f16_e32 v35, v62, v27
	v_mul_f16_e32 v50, v21, v41
	v_mul_f16_e32 v41, v23, v41
	v_mul_f16_e32 v51, v24, v38
	v_mul_f16_e32 v38, v22, v38
	v_mul_f16_e32 v48, v6, v47
	v_mul_f16_e32 v47, v5, v47
	v_mul_f16_e32 v49, v10, v43
	v_mul_f16_e32 v43, v8, v43
	v_pack_b32_f16 v3, v32, v3
	v_mul_f16_e32 v40, v35, v56
	v_mul_f16_e32 v44, v34, v56
	v_pack_b32_f16 v7, v29, v7
	v_mul_f16_e32 v25, v9, v78
	v_mul_f16_e32 v26, v4, v78
	;; [unrolled: 1-line block ×6, first 2 shown]
	v_fma_f16 v23, v23, v53, -v50
	v_fma_f16 v22, v22, v55, -v51
	v_fmac_f16_e32 v38, v24, v55
	v_fmac_f16_e32 v41, v21, v53
	v_fma_f16 v5, v5, v45, -v48
	v_fma_f16 v8, v8, v46, -v49
	v_fmac_f16_e32 v43, v10, v46
	v_fmac_f16_e32 v47, v6, v45
	ds_write_b32 v20, v3
	v_fma_f16 v20, v34, v42, -v40
	v_fmac_f16_e32 v44, v35, v42
	v_fma_f16 v3, v4, v60, -v25
	v_fmac_f16_e32 v26, v9, v60
	v_fma_f16 v4, v28, v37, -v27
	v_fmac_f16_e32 v29, v30, v37
	v_fma_f16 v9, v31, v39, -v32
	v_fmac_f16_e32 v36, v33, v39
	v_pack_b32_f16 v6, v38, v22
	v_pack_b32_f16 v10, v41, v23
	;; [unrolled: 1-line block ×8, first 2 shown]
	ds_write2_b32 v0, v6, v10 offset0:6 offset1:12
	ds_write2_b32 v0, v8, v5 offset0:18 offset1:24
	;; [unrolled: 1-line block ×4, first 2 shown]
	ds_write_b32 v0, v3 offset:216
.LBB0_20:
	s_or_b32 exec_lo, exec_lo, s4
	s_waitcnt lgkmcnt(0)
	s_barrier
	buffer_gl0_inv
	s_and_saveexec_b32 s4, s5
	s_cbranch_execz .LBB0_22
; %bb.21:
	v_mad_u64_u32 v[3:4], null, s2, v17, 0
	v_mad_u64_u32 v[5:6], null, s0, v16, 0
	v_add3_u32 v21, 0, v18, v19
	v_add_co_u32 v10, vcc_lo, s16, v1
	v_mov_b32_e32 v0, v4
	v_mad_u64_u32 v[7:8], null, s3, v17, v[0:1]
	v_mov_b32_e32 v0, v6
	v_mad_u64_u32 v[8:9], null, s0, v15, 0
	v_mad_u64_u32 v[17:18], null, s0, v14, 0
	;; [unrolled: 1-line block ×3, first 2 shown]
	v_mov_b32_e32 v4, v7
	v_add_co_ci_u32_e32 v16, vcc_lo, s17, v2, vcc_lo
	v_mad_u64_u32 v[0:1], null, s0, v13, 0
	v_lshlrev_b64 v[2:3], 2, v[3:4]
	v_mov_b32_e32 v6, v19
	ds_read2_b32 v[19:20], v21 offset1:10
	v_mov_b32_e32 v4, v9
	v_mov_b32_e32 v7, v18
	v_lshlrev_b64 v[5:6], 2, v[5:6]
	v_add_co_u32 v22, vcc_lo, v10, v2
	v_add_co_ci_u32_e32 v23, vcc_lo, v16, v3, vcc_lo
	v_mad_u64_u32 v[2:3], null, s1, v15, v[4:5]
	v_add_co_u32 v3, vcc_lo, v22, v5
	v_add_co_ci_u32_e32 v4, vcc_lo, v23, v6, vcc_lo
	v_mad_u64_u32 v[5:6], null, s1, v14, v[7:8]
	v_mad_u64_u32 v[6:7], null, s0, v12, 0
	v_mov_b32_e32 v9, v2
	v_mad_u64_u32 v[1:2], null, s1, v13, v[1:2]
	s_waitcnt lgkmcnt(0)
	global_store_dword v[3:4], v19, off
	v_mov_b32_e32 v18, v5
	v_lshlrev_b64 v[2:3], 2, v[8:9]
	v_mad_u64_u32 v[8:9], null, s0, v11, 0
	v_mov_b32_e32 v4, v7
	v_lshlrev_b64 v[0:1], 2, v[0:1]
	v_add_co_u32 v2, vcc_lo, v22, v2
	v_mad_u64_u32 v[4:5], null, s1, v12, v[4:5]
	v_mov_b32_e32 v5, v9
	v_lshlrev_b64 v[9:10], 2, v[17:18]
	ds_read2_b32 v[12:13], v21 offset0:20 offset1:30
	v_add_co_ci_u32_e32 v3, vcc_lo, v23, v3, vcc_lo
	v_mad_u64_u32 v[14:15], null, s1, v11, v[5:6]
	v_mov_b32_e32 v7, v4
	ds_read2_b32 v[4:5], v21 offset0:40 offset1:50
	v_add_co_u32 v15, vcc_lo, v22, v9
	v_add_co_ci_u32_e32 v16, vcc_lo, v23, v10, vcc_lo
	v_mov_b32_e32 v9, v14
	v_lshlrev_b64 v[6:7], 2, v[6:7]
	v_add_co_u32 v0, vcc_lo, v22, v0
	v_add_co_ci_u32_e32 v1, vcc_lo, v23, v1, vcc_lo
	v_lshlrev_b64 v[8:9], 2, v[8:9]
	v_add_co_u32 v6, vcc_lo, v22, v6
	v_add_co_ci_u32_e32 v7, vcc_lo, v23, v7, vcc_lo
	v_add_co_u32 v8, vcc_lo, v22, v8
	v_add_co_ci_u32_e32 v9, vcc_lo, v23, v9, vcc_lo
	global_store_dword v[2:3], v20, off
	s_waitcnt lgkmcnt(1)
	global_store_dword v[15:16], v12, off
	global_store_dword v[0:1], v13, off
	s_waitcnt lgkmcnt(0)
	global_store_dword v[6:7], v4, off
	global_store_dword v[8:9], v5, off
.LBB0_22:
	s_endpgm
	.section	.rodata,"a",@progbits
	.p2align	6, 0x0
	.amdhsa_kernel fft_rtc_back_len60_factors_6_10_wgs_160_tpt_10_half_ip_CI_sbcc_twdbase6_3step
		.amdhsa_group_segment_fixed_size 0
		.amdhsa_private_segment_fixed_size 0
		.amdhsa_kernarg_size 96
		.amdhsa_user_sgpr_count 6
		.amdhsa_user_sgpr_private_segment_buffer 1
		.amdhsa_user_sgpr_dispatch_ptr 0
		.amdhsa_user_sgpr_queue_ptr 0
		.amdhsa_user_sgpr_kernarg_segment_ptr 1
		.amdhsa_user_sgpr_dispatch_id 0
		.amdhsa_user_sgpr_flat_scratch_init 0
		.amdhsa_user_sgpr_private_segment_size 0
		.amdhsa_wavefront_size32 1
		.amdhsa_uses_dynamic_stack 0
		.amdhsa_system_sgpr_private_segment_wavefront_offset 0
		.amdhsa_system_sgpr_workgroup_id_x 1
		.amdhsa_system_sgpr_workgroup_id_y 0
		.amdhsa_system_sgpr_workgroup_id_z 0
		.amdhsa_system_sgpr_workgroup_info 0
		.amdhsa_system_vgpr_workitem_id 0
		.amdhsa_next_free_vgpr 87
		.amdhsa_next_free_sgpr 42
		.amdhsa_reserve_vcc 1
		.amdhsa_reserve_flat_scratch 0
		.amdhsa_float_round_mode_32 0
		.amdhsa_float_round_mode_16_64 0
		.amdhsa_float_denorm_mode_32 3
		.amdhsa_float_denorm_mode_16_64 3
		.amdhsa_dx10_clamp 1
		.amdhsa_ieee_mode 1
		.amdhsa_fp16_overflow 0
		.amdhsa_workgroup_processor_mode 1
		.amdhsa_memory_ordered 1
		.amdhsa_forward_progress 0
		.amdhsa_shared_vgpr_count 0
		.amdhsa_exception_fp_ieee_invalid_op 0
		.amdhsa_exception_fp_denorm_src 0
		.amdhsa_exception_fp_ieee_div_zero 0
		.amdhsa_exception_fp_ieee_overflow 0
		.amdhsa_exception_fp_ieee_underflow 0
		.amdhsa_exception_fp_ieee_inexact 0
		.amdhsa_exception_int_div_zero 0
	.end_amdhsa_kernel
	.text
.Lfunc_end0:
	.size	fft_rtc_back_len60_factors_6_10_wgs_160_tpt_10_half_ip_CI_sbcc_twdbase6_3step, .Lfunc_end0-fft_rtc_back_len60_factors_6_10_wgs_160_tpt_10_half_ip_CI_sbcc_twdbase6_3step
                                        ; -- End function
	.section	.AMDGPU.csdata,"",@progbits
; Kernel info:
; codeLenInByte = 5864
; NumSgprs: 44
; NumVgprs: 87
; ScratchSize: 0
; MemoryBound: 0
; FloatMode: 240
; IeeeMode: 1
; LDSByteSize: 0 bytes/workgroup (compile time only)
; SGPRBlocks: 5
; VGPRBlocks: 10
; NumSGPRsForWavesPerEU: 44
; NumVGPRsForWavesPerEU: 87
; Occupancy: 10
; WaveLimiterHint : 1
; COMPUTE_PGM_RSRC2:SCRATCH_EN: 0
; COMPUTE_PGM_RSRC2:USER_SGPR: 6
; COMPUTE_PGM_RSRC2:TRAP_HANDLER: 0
; COMPUTE_PGM_RSRC2:TGID_X_EN: 1
; COMPUTE_PGM_RSRC2:TGID_Y_EN: 0
; COMPUTE_PGM_RSRC2:TGID_Z_EN: 0
; COMPUTE_PGM_RSRC2:TIDIG_COMP_CNT: 0
	.text
	.p2alignl 6, 3214868480
	.fill 48, 4, 3214868480
	.type	__hip_cuid_418bddf2c450b3f5,@object ; @__hip_cuid_418bddf2c450b3f5
	.section	.bss,"aw",@nobits
	.globl	__hip_cuid_418bddf2c450b3f5
__hip_cuid_418bddf2c450b3f5:
	.byte	0                               ; 0x0
	.size	__hip_cuid_418bddf2c450b3f5, 1

	.ident	"AMD clang version 19.0.0git (https://github.com/RadeonOpenCompute/llvm-project roc-6.4.0 25133 c7fe45cf4b819c5991fe208aaa96edf142730f1d)"
	.section	".note.GNU-stack","",@progbits
	.addrsig
	.addrsig_sym __hip_cuid_418bddf2c450b3f5
	.amdgpu_metadata
---
amdhsa.kernels:
  - .args:
      - .actual_access:  read_only
        .address_space:  global
        .offset:         0
        .size:           8
        .value_kind:     global_buffer
      - .address_space:  global
        .offset:         8
        .size:           8
        .value_kind:     global_buffer
      - .offset:         16
        .size:           8
        .value_kind:     by_value
      - .actual_access:  read_only
        .address_space:  global
        .offset:         24
        .size:           8
        .value_kind:     global_buffer
      - .actual_access:  read_only
        .address_space:  global
        .offset:         32
        .size:           8
        .value_kind:     global_buffer
      - .offset:         40
        .size:           8
        .value_kind:     by_value
      - .actual_access:  read_only
        .address_space:  global
        .offset:         48
        .size:           8
        .value_kind:     global_buffer
      - .actual_access:  read_only
        .address_space:  global
        .offset:         56
        .size:           8
        .value_kind:     global_buffer
      - .offset:         64
        .size:           4
        .value_kind:     by_value
      - .actual_access:  read_only
        .address_space:  global
        .offset:         72
        .size:           8
        .value_kind:     global_buffer
      - .actual_access:  read_only
        .address_space:  global
        .offset:         80
        .size:           8
        .value_kind:     global_buffer
      - .address_space:  global
        .offset:         88
        .size:           8
        .value_kind:     global_buffer
    .group_segment_fixed_size: 0
    .kernarg_segment_align: 8
    .kernarg_segment_size: 96
    .language:       OpenCL C
    .language_version:
      - 2
      - 0
    .max_flat_workgroup_size: 160
    .name:           fft_rtc_back_len60_factors_6_10_wgs_160_tpt_10_half_ip_CI_sbcc_twdbase6_3step
    .private_segment_fixed_size: 0
    .sgpr_count:     44
    .sgpr_spill_count: 0
    .symbol:         fft_rtc_back_len60_factors_6_10_wgs_160_tpt_10_half_ip_CI_sbcc_twdbase6_3step.kd
    .uniform_work_group_size: 1
    .uses_dynamic_stack: false
    .vgpr_count:     87
    .vgpr_spill_count: 0
    .wavefront_size: 32
    .workgroup_processor_mode: 1
amdhsa.target:   amdgcn-amd-amdhsa--gfx1030
amdhsa.version:
  - 1
  - 2
...

	.end_amdgpu_metadata
